;; amdgpu-corpus repo=ROCm/rocFFT kind=compiled arch=gfx906 opt=O3
	.text
	.amdgcn_target "amdgcn-amd-amdhsa--gfx906"
	.amdhsa_code_object_version 6
	.protected	bluestein_single_back_len275_dim1_dp_op_CI_CI ; -- Begin function bluestein_single_back_len275_dim1_dp_op_CI_CI
	.globl	bluestein_single_back_len275_dim1_dp_op_CI_CI
	.p2align	8
	.type	bluestein_single_back_len275_dim1_dp_op_CI_CI,@function
bluestein_single_back_len275_dim1_dp_op_CI_CI: ; @bluestein_single_back_len275_dim1_dp_op_CI_CI
; %bb.0:
	s_load_dwordx4 s[0:3], s[4:5], 0x28
	v_mul_u32_u24_e32 v1, 0x4a8, v0
	v_add_u32_sdwa v80, s6, v1 dst_sel:DWORD dst_unused:UNUSED_PAD src0_sel:DWORD src1_sel:WORD_1
	v_mov_b32_e32 v81, 0
	s_waitcnt lgkmcnt(0)
	v_cmp_gt_u64_e32 vcc, s[0:1], v[80:81]
	s_and_saveexec_b64 s[0:1], vcc
	s_cbranch_execz .LBB0_15
; %bb.1:
	s_load_dwordx2 s[14:15], s[4:5], 0x0
	s_load_dwordx2 s[12:13], s[4:5], 0x38
	v_mov_b32_e32 v2, 55
	v_mul_lo_u16_sdwa v1, v1, v2 dst_sel:DWORD dst_unused:UNUSED_PAD src0_sel:WORD_1 src1_sel:DWORD
	v_sub_u16_e32 v170, v0, v1
	v_cmp_gt_u16_e64 s[0:1], 25, v170
	v_lshlrev_b32_e32 v169, 4, v170
	s_and_saveexec_b64 s[6:7], s[0:1]
	s_cbranch_execz .LBB0_3
; %bb.2:
	s_load_dwordx2 s[8:9], s[4:5], 0x18
	s_waitcnt lgkmcnt(0)
	s_load_dwordx4 s[8:11], s[8:9], 0x0
	s_waitcnt lgkmcnt(0)
	v_mad_u64_u32 v[0:1], s[16:17], s10, v80, 0
	v_mad_u64_u32 v[2:3], s[16:17], s8, v170, 0
	;; [unrolled: 1-line block ×4, first 2 shown]
	v_mov_b32_e32 v1, v4
	v_lshlrev_b64 v[0:1], 4, v[0:1]
	v_mov_b32_e32 v3, v5
	v_mov_b32_e32 v6, s3
	v_lshlrev_b64 v[2:3], 4, v[2:3]
	v_add_co_u32_e32 v0, vcc, s2, v0
	v_addc_co_u32_e32 v1, vcc, v6, v1, vcc
	v_add_co_u32_e32 v16, vcc, v0, v2
	s_mul_i32 s2, s9, 0x190
	s_mul_hi_u32 s3, s8, 0x190
	v_addc_co_u32_e32 v17, vcc, v1, v3, vcc
	s_add_i32 s2, s3, s2
	s_mul_i32 s3, s8, 0x190
	v_mov_b32_e32 v0, s2
	v_add_co_u32_e32 v18, vcc, s3, v16
	v_addc_co_u32_e32 v19, vcc, v17, v0, vcc
	global_load_dwordx4 v[0:3], v[16:17], off
	global_load_dwordx4 v[4:7], v[18:19], off
	global_load_dwordx4 v[8:11], v169, s[14:15]
	global_load_dwordx4 v[12:15], v169, s[14:15] offset:400
	v_mov_b32_e32 v16, s2
	v_add_co_u32_e32 v32, vcc, s3, v18
	v_addc_co_u32_e32 v33, vcc, v19, v16, vcc
	v_add_co_u32_e32 v34, vcc, s3, v32
	v_addc_co_u32_e32 v35, vcc, v33, v16, vcc
	global_load_dwordx4 v[16:19], v169, s[14:15] offset:800
	global_load_dwordx4 v[20:23], v169, s[14:15] offset:1200
	global_load_dwordx4 v[24:27], v[32:33], off
	global_load_dwordx4 v[28:31], v[34:35], off
	v_mov_b32_e32 v32, s2
	v_add_co_u32_e32 v44, vcc, s3, v34
	v_addc_co_u32_e32 v45, vcc, v35, v32, vcc
	v_mov_b32_e32 v46, s2
	v_add_co_u32_e32 v56, vcc, s3, v44
	v_addc_co_u32_e32 v57, vcc, v45, v46, vcc
	global_load_dwordx4 v[32:35], v[44:45], off
	global_load_dwordx4 v[36:39], v169, s[14:15] offset:1600
	global_load_dwordx4 v[40:43], v169, s[14:15] offset:2000
	v_mov_b32_e32 v58, s2
	v_add_co_u32_e32 v60, vcc, s3, v56
	v_addc_co_u32_e32 v61, vcc, v57, v58, vcc
	v_mov_b32_e32 v62, s2
	v_add_co_u32_e32 v64, vcc, s3, v60
	global_load_dwordx4 v[44:47], v[56:57], off
	global_load_dwordx4 v[48:51], v169, s[14:15] offset:2400
	global_load_dwordx4 v[52:55], v169, s[14:15] offset:2800
	v_addc_co_u32_e32 v65, vcc, v61, v62, vcc
	v_mov_b32_e32 v66, s2
	v_add_co_u32_e32 v76, vcc, s3, v64
	global_load_dwordx4 v[56:59], v[60:61], off
	v_addc_co_u32_e32 v77, vcc, v65, v66, vcc
	global_load_dwordx4 v[60:63], v[64:65], off
	v_mov_b32_e32 v78, s2
	v_add_co_u32_e32 v81, vcc, s3, v76
	v_addc_co_u32_e32 v82, vcc, v77, v78, vcc
	global_load_dwordx4 v[64:67], v[76:77], off
	global_load_dwordx4 v[68:71], v169, s[14:15] offset:3200
	global_load_dwordx4 v[72:75], v169, s[14:15] offset:3600
	v_mov_b32_e32 v83, s2
	global_load_dwordx4 v[76:79], v[81:82], off
	v_add_co_u32_e32 v89, vcc, s3, v81
	v_addc_co_u32_e32 v90, vcc, v82, v83, vcc
	global_load_dwordx4 v[81:84], v169, s[14:15] offset:4000
	global_load_dwordx4 v[85:88], v[89:90], off
	s_waitcnt vmcnt(19)
	v_mul_f64 v[89:90], v[2:3], v[10:11]
	v_mul_f64 v[10:11], v[0:1], v[10:11]
	s_waitcnt vmcnt(18)
	v_mul_f64 v[91:92], v[6:7], v[14:15]
	v_mul_f64 v[14:15], v[4:5], v[14:15]
	v_fma_f64 v[0:1], v[0:1], v[8:9], v[89:90]
	v_fma_f64 v[2:3], v[2:3], v[8:9], -v[10:11]
	s_waitcnt vmcnt(15)
	v_mul_f64 v[93:94], v[26:27], v[18:19]
	v_mul_f64 v[18:19], v[24:25], v[18:19]
	s_waitcnt vmcnt(14)
	v_mul_f64 v[95:96], v[30:31], v[22:23]
	v_mul_f64 v[22:23], v[28:29], v[22:23]
	v_fma_f64 v[4:5], v[4:5], v[12:13], v[91:92]
	v_fma_f64 v[6:7], v[6:7], v[12:13], -v[14:15]
	v_fma_f64 v[8:9], v[24:25], v[16:17], v[93:94]
	v_fma_f64 v[10:11], v[26:27], v[16:17], -v[18:19]
	v_fma_f64 v[12:13], v[28:29], v[20:21], v[95:96]
	s_waitcnt vmcnt(12)
	v_mul_f64 v[97:98], v[34:35], v[38:39]
	v_mul_f64 v[18:19], v[32:33], v[38:39]
	v_fma_f64 v[14:15], v[30:31], v[20:21], -v[22:23]
	ds_write_b128 v169, v[0:3]
	ds_write_b128 v169, v[4:7] offset:400
	ds_write_b128 v169, v[8:11] offset:800
	s_waitcnt vmcnt(10)
	v_mul_f64 v[20:21], v[46:47], v[42:43]
	v_mul_f64 v[22:23], v[44:45], v[42:43]
	v_fma_f64 v[16:17], v[32:33], v[36:37], v[97:98]
	v_fma_f64 v[18:19], v[34:35], v[36:37], -v[18:19]
	s_waitcnt vmcnt(7)
	v_mul_f64 v[24:25], v[58:59], v[50:51]
	v_mul_f64 v[26:27], v[56:57], v[50:51]
	v_fma_f64 v[20:21], v[44:45], v[40:41], v[20:21]
	s_waitcnt vmcnt(6)
	v_mul_f64 v[28:29], v[62:63], v[54:55]
	v_mul_f64 v[30:31], v[60:61], v[54:55]
	v_fma_f64 v[22:23], v[46:47], v[40:41], -v[22:23]
	s_waitcnt vmcnt(4)
	v_mul_f64 v[32:33], v[66:67], v[70:71]
	v_mul_f64 v[34:35], v[64:65], v[70:71]
	v_fma_f64 v[24:25], v[56:57], v[48:49], v[24:25]
	s_waitcnt vmcnt(2)
	v_mul_f64 v[36:37], v[78:79], v[74:75]
	v_mul_f64 v[38:39], v[76:77], v[74:75]
	v_fma_f64 v[26:27], v[58:59], v[48:49], -v[26:27]
	v_fma_f64 v[28:29], v[60:61], v[52:53], v[28:29]
	v_fma_f64 v[30:31], v[62:63], v[52:53], -v[30:31]
	s_waitcnt vmcnt(0)
	v_mul_f64 v[40:41], v[87:88], v[83:84]
	v_mul_f64 v[42:43], v[85:86], v[83:84]
	v_fma_f64 v[32:33], v[64:65], v[68:69], v[32:33]
	v_fma_f64 v[34:35], v[66:67], v[68:69], -v[34:35]
	v_fma_f64 v[0:1], v[76:77], v[72:73], v[36:37]
	v_fma_f64 v[2:3], v[78:79], v[72:73], -v[38:39]
	;; [unrolled: 2-line block ×3, first 2 shown]
	ds_write_b128 v169, v[12:15] offset:1200
	ds_write_b128 v169, v[16:19] offset:1600
	;; [unrolled: 1-line block ×8, first 2 shown]
.LBB0_3:
	s_or_b64 exec, exec, s[6:7]
	s_load_dwordx2 s[6:7], s[4:5], 0x20
	s_load_dwordx2 s[2:3], s[4:5], 0x8
	s_waitcnt lgkmcnt(0)
	; wave barrier
	s_waitcnt lgkmcnt(0)
                                        ; implicit-def: $vgpr24_vgpr25
                                        ; implicit-def: $vgpr28_vgpr29
                                        ; implicit-def: $vgpr32_vgpr33
                                        ; implicit-def: $vgpr36_vgpr37
                                        ; implicit-def: $vgpr40_vgpr41
                                        ; implicit-def: $vgpr44_vgpr45
                                        ; implicit-def: $vgpr48_vgpr49
                                        ; implicit-def: $vgpr52_vgpr53
                                        ; implicit-def: $vgpr56_vgpr57
                                        ; implicit-def: $vgpr60_vgpr61
                                        ; implicit-def: $vgpr64_vgpr65
	s_and_saveexec_b64 s[4:5], s[0:1]
	s_cbranch_execz .LBB0_5
; %bb.4:
	ds_read_b128 v[24:27], v169
	ds_read_b128 v[28:31], v169 offset:400
	ds_read_b128 v[32:35], v169 offset:800
	;; [unrolled: 1-line block ×10, first 2 shown]
.LBB0_5:
	s_or_b64 exec, exec, s[4:5]
	s_waitcnt lgkmcnt(0)
	v_add_f64 v[8:9], v[30:31], -v[66:67]
	v_add_f64 v[10:11], v[28:29], -v[64:65]
	s_mov_b32 s22, 0xf8bb580b
	s_mov_b32 s23, 0xbfe14ced
	v_add_f64 v[83:84], v[28:29], v[64:65]
	v_add_f64 v[12:13], v[34:35], -v[62:63]
	v_add_f64 v[97:98], v[30:31], v[66:67]
	v_add_f64 v[14:15], v[32:33], -v[60:61]
	v_mul_f64 v[68:69], v[8:9], s[22:23]
	v_mul_f64 v[72:73], v[10:11], s[22:23]
	s_mov_b32 s4, 0x8764f0ba
	s_mov_b32 s5, 0x3feaeb8c
	;; [unrolled: 1-line block ×4, first 2 shown]
	v_add_f64 v[99:100], v[32:33], v[60:61]
	v_mul_f64 v[70:71], v[12:13], s[16:17]
	v_fma_f64 v[0:1], v[83:84], s[4:5], v[68:69]
	v_add_f64 v[103:104], v[34:35], v[62:63]
	v_fma_f64 v[2:3], v[97:98], s[4:5], -v[72:73]
	v_mul_f64 v[74:75], v[14:15], s[16:17]
	v_add_f64 v[16:17], v[38:39], -v[58:59]
	v_add_f64 v[18:19], v[36:37], -v[56:57]
	s_mov_b32 s8, 0xd9c712b6
	s_mov_b32 s20, 0x43842ef
	;; [unrolled: 1-line block ×4, first 2 shown]
	v_fma_f64 v[4:5], v[99:100], s[8:9], v[70:71]
	v_add_f64 v[0:1], v[24:25], v[0:1]
	v_add_f64 v[2:3], v[26:27], v[2:3]
	v_fma_f64 v[6:7], v[103:104], s[8:9], -v[74:75]
	v_add_f64 v[109:110], v[36:37], v[56:57]
	v_mul_f64 v[76:77], v[16:17], s[20:21]
	v_add_f64 v[113:114], v[38:39], v[58:59]
	v_mul_f64 v[78:79], v[18:19], s[20:21]
	s_mov_b32 s10, 0x640f44db
	s_mov_b32 s11, 0xbfc2375f
	v_add_f64 v[0:1], v[4:5], v[0:1]
	v_add_f64 v[2:3], v[6:7], v[2:3]
	v_mul_f64 v[87:88], v[8:9], s[16:17]
	v_fma_f64 v[4:5], v[109:110], s[10:11], v[76:77]
	v_mul_f64 v[125:126], v[10:11], s[16:17]
	v_fma_f64 v[6:7], v[113:114], s[10:11], -v[78:79]
	s_mov_b32 s26, 0xbb3a28a1
	s_mov_b32 s27, 0xbfe82f19
	v_add_f64 v[20:21], v[42:43], -v[54:55]
	v_add_f64 v[22:23], v[40:41], -v[52:53]
	v_mul_f64 v[91:92], v[12:13], s[26:27]
	v_add_f64 v[0:1], v[4:5], v[0:1]
	v_fma_f64 v[4:5], v[83:84], s[8:9], v[87:88]
	v_add_f64 v[2:3], v[6:7], v[2:3]
	v_fma_f64 v[6:7], v[97:98], s[8:9], -v[125:126]
	v_mul_f64 v[107:108], v[14:15], s[26:27]
	s_mov_b32 s18, 0x7f775887
	s_mov_b32 s28, 0xfd768dbf
	;; [unrolled: 1-line block ×6, first 2 shown]
	v_add_f64 v[119:120], v[40:41], v[52:53]
	v_mul_f64 v[81:82], v[20:21], s[26:27]
	v_add_f64 v[121:122], v[42:43], v[54:55]
	v_mul_f64 v[85:86], v[22:23], s[26:27]
	v_add_f64 v[171:172], v[46:47], -v[50:51]
	v_add_f64 v[4:5], v[24:25], v[4:5]
	v_fma_f64 v[95:96], v[99:100], s[18:19], v[91:92]
	v_add_f64 v[6:7], v[26:27], v[6:7]
	v_fma_f64 v[101:102], v[103:104], s[18:19], -v[107:108]
	v_mul_f64 v[93:94], v[16:17], s[34:35]
	v_mul_f64 v[111:112], v[18:19], s[34:35]
	s_mov_b32 s24, 0x9bcd5057
	s_mov_b32 s25, 0xbfeeb42a
	;; [unrolled: 1-line block ×4, first 2 shown]
	v_add_f64 v[173:174], v[44:45], -v[48:49]
	v_fma_f64 v[105:106], v[119:120], s[18:19], v[81:82]
	v_fma_f64 v[117:118], v[121:122], s[18:19], -v[85:86]
	v_add_f64 v[133:134], v[44:45], v[48:49]
	v_mul_f64 v[89:90], v[171:172], s[28:29]
	v_add_f64 v[4:5], v[95:96], v[4:5]
	v_add_f64 v[6:7], v[101:102], v[6:7]
	v_fma_f64 v[123:124], v[109:110], s[24:25], v[93:94]
	v_fma_f64 v[127:128], v[113:114], s[24:25], -v[111:112]
	v_mul_f64 v[101:102], v[20:21], s[36:37]
	v_mul_f64 v[115:116], v[22:23], s[36:37]
	s_mov_b32 s31, 0x3fe14ced
	s_mov_b32 s30, s22
	v_add_f64 v[139:140], v[46:47], v[50:51]
	v_mul_f64 v[95:96], v[173:174], s[28:29]
	v_add_f64 v[0:1], v[105:106], v[0:1]
	v_add_f64 v[2:3], v[117:118], v[2:3]
	;; [unrolled: 1-line block ×4, first 2 shown]
	v_fma_f64 v[127:128], v[119:120], s[10:11], v[101:102]
	v_fma_f64 v[129:130], v[121:122], s[10:11], -v[115:116]
	v_mul_f64 v[105:106], v[171:172], s[30:31]
	v_mul_f64 v[117:118], v[173:174], s[30:31]
	;; [unrolled: 1-line block ×3, first 2 shown]
	v_fma_f64 v[131:132], v[133:134], s[24:25], v[89:90]
	v_mul_f64 v[145:146], v[10:11], s[20:21]
	v_mul_f64 v[149:150], v[8:9], s[26:27]
	;; [unrolled: 1-line block ×3, first 2 shown]
	v_fma_f64 v[135:136], v[139:140], s[24:25], -v[95:96]
	v_add_f64 v[4:5], v[127:128], v[4:5]
	v_add_f64 v[6:7], v[129:130], v[6:7]
	v_fma_f64 v[129:130], v[133:134], s[4:5], v[105:106]
	v_fma_f64 v[137:138], v[139:140], s[4:5], -v[117:118]
	v_fma_f64 v[141:142], v[83:84], s[10:11], v[123:124]
	v_add_f64 v[0:1], v[131:132], v[0:1]
	v_mul_f64 v[127:128], v[12:13], s[34:35]
	v_fma_f64 v[131:132], v[97:98], s[10:11], -v[145:146]
	v_mul_f64 v[147:148], v[14:15], s[34:35]
	v_fma_f64 v[153:154], v[83:84], s[18:19], v[149:150]
	v_mul_f64 v[151:152], v[12:13], s[36:37]
	v_fma_f64 v[155:156], v[97:98], s[18:19], -v[157:158]
	v_mul_f64 v[159:160], v[14:15], s[36:37]
	v_mul_f64 v[8:9], v[8:9], s[28:29]
	;; [unrolled: 1-line block ×3, first 2 shown]
	s_mov_b32 s17, 0x3fed1bb4
	v_add_f64 v[2:3], v[135:136], v[2:3]
	v_add_f64 v[4:5], v[129:130], v[4:5]
	;; [unrolled: 1-line block ×4, first 2 shown]
	v_fma_f64 v[141:142], v[99:100], s[24:25], v[127:128]
	v_add_f64 v[131:132], v[26:27], v[131:132]
	v_fma_f64 v[143:144], v[103:104], s[24:25], -v[147:148]
	v_mul_f64 v[129:130], v[16:17], s[16:17]
	v_mul_f64 v[135:136], v[18:19], s[16:17]
	v_add_f64 v[153:154], v[24:25], v[153:154]
	v_fma_f64 v[161:162], v[99:100], s[10:11], v[151:152]
	v_add_f64 v[165:166], v[26:27], v[155:156]
	v_fma_f64 v[167:168], v[103:104], s[10:11], -v[159:160]
	v_mul_f64 v[155:156], v[16:17], s[22:23]
	v_mul_f64 v[163:164], v[18:19], s[22:23]
	v_fma_f64 v[187:188], v[83:84], s[24:25], -v[8:9]
	v_mul_f64 v[12:13], v[12:13], s[30:31]
	v_fma_f64 v[189:190], v[97:98], s[24:25], v[10:11]
	v_mul_f64 v[14:15], v[14:15], s[30:31]
	v_fma_f64 v[8:9], v[83:84], s[24:25], v[8:9]
	v_fma_f64 v[10:11], v[97:98], s[24:25], -v[10:11]
	v_add_f64 v[137:138], v[141:142], v[137:138]
	v_add_f64 v[141:142], v[143:144], v[131:132]
	v_fma_f64 v[131:132], v[109:110], s[8:9], v[129:130]
	v_fma_f64 v[143:144], v[113:114], s[8:9], -v[135:136]
	v_add_f64 v[179:180], v[161:162], v[153:154]
	v_add_f64 v[165:166], v[167:168], v[165:166]
	v_fma_f64 v[167:168], v[109:110], s[4:5], v[155:156]
	v_fma_f64 v[181:182], v[113:114], s[4:5], -v[163:164]
	v_mul_f64 v[153:154], v[20:21], s[28:29]
	v_mul_f64 v[161:162], v[22:23], s[28:29]
	v_add_f64 v[187:188], v[24:25], v[187:188]
	v_fma_f64 v[191:192], v[99:100], s[4:5], -v[12:13]
	v_add_f64 v[189:190], v[26:27], v[189:190]
	v_fma_f64 v[193:194], v[103:104], s[4:5], v[14:15]
	v_mul_f64 v[16:17], v[16:17], s[26:27]
	v_mul_f64 v[18:19], v[18:19], s[26:27]
	v_add_f64 v[8:9], v[24:25], v[8:9]
	v_fma_f64 v[12:13], v[99:100], s[4:5], v[12:13]
	v_add_f64 v[10:11], v[26:27], v[10:11]
	v_fma_f64 v[14:15], v[103:104], s[4:5], -v[14:15]
	v_add_f64 v[175:176], v[131:132], v[137:138]
	v_mul_f64 v[131:132], v[20:21], s[22:23]
	v_add_f64 v[177:178], v[143:144], v[141:142]
	v_mul_f64 v[141:142], v[22:23], s[22:23]
	v_add_f64 v[167:168], v[167:168], v[179:180]
	v_add_f64 v[165:166], v[181:182], v[165:166]
	v_fma_f64 v[179:180], v[119:120], s[24:25], v[153:154]
	v_fma_f64 v[181:182], v[121:122], s[24:25], -v[161:162]
	v_add_f64 v[187:188], v[191:192], v[187:188]
	v_add_f64 v[189:190], v[193:194], v[189:190]
	v_fma_f64 v[191:192], v[109:110], s[18:19], -v[16:17]
	v_fma_f64 v[193:194], v[113:114], s[18:19], v[18:19]
	v_mul_f64 v[20:21], v[20:21], s[16:17]
	v_mul_f64 v[22:23], v[22:23], s[16:17]
	v_add_f64 v[8:9], v[12:13], v[8:9]
	v_add_f64 v[10:11], v[14:15], v[10:11]
	v_fma_f64 v[12:13], v[109:110], s[18:19], v[16:17]
	v_fma_f64 v[14:15], v[113:114], s[18:19], -v[18:19]
	v_fma_f64 v[183:184], v[119:120], s[4:5], v[131:132]
	v_fma_f64 v[185:186], v[121:122], s[4:5], -v[141:142]
	v_mul_f64 v[137:138], v[171:172], s[26:27]
	v_mul_f64 v[143:144], v[173:174], s[26:27]
	v_add_f64 v[179:180], v[179:180], v[167:168]
	v_add_f64 v[181:182], v[181:182], v[165:166]
	v_mul_f64 v[165:166], v[171:172], s[16:17]
	v_mul_f64 v[167:168], v[173:174], s[16:17]
	v_add_f64 v[16:17], v[191:192], v[187:188]
	v_add_f64 v[18:19], v[193:194], v[189:190]
	v_fma_f64 v[187:188], v[119:120], s[8:9], -v[20:21]
	v_fma_f64 v[189:190], v[121:122], s[8:9], v[22:23]
	v_mul_f64 v[171:172], v[171:172], s[20:21]
	v_mul_f64 v[173:174], v[173:174], s[20:21]
	v_add_f64 v[8:9], v[12:13], v[8:9]
	v_add_f64 v[10:11], v[14:15], v[10:11]
	v_fma_f64 v[12:13], v[119:120], s[8:9], v[20:21]
	v_fma_f64 v[14:15], v[121:122], s[8:9], -v[22:23]
	v_add_f64 v[175:176], v[183:184], v[175:176]
	v_add_f64 v[177:178], v[185:186], v[177:178]
	v_fma_f64 v[183:184], v[133:134], s[18:19], v[137:138]
	v_fma_f64 v[185:186], v[139:140], s[18:19], -v[143:144]
	v_fma_f64 v[20:21], v[133:134], s[8:9], v[165:166]
	v_fma_f64 v[22:23], v[139:140], s[8:9], -v[167:168]
	v_add_f64 v[187:188], v[187:188], v[16:17]
	v_add_f64 v[189:190], v[189:190], v[18:19]
	v_fma_f64 v[191:192], v[133:134], s[10:11], -v[171:172]
	v_fma_f64 v[193:194], v[139:140], s[10:11], v[173:174]
	v_add_f64 v[195:196], v[12:13], v[8:9]
	v_add_f64 v[197:198], v[14:15], v[10:11]
	v_fma_f64 v[171:172], v[133:134], s[10:11], v[171:172]
	v_fma_f64 v[173:174], v[139:140], s[10:11], -v[173:174]
	v_add_f64 v[16:17], v[183:184], v[175:176]
	v_add_f64 v[18:19], v[185:186], v[177:178]
	;; [unrolled: 1-line block ×8, first 2 shown]
	v_mul_lo_u16_e32 v171, 11, v170
	s_waitcnt lgkmcnt(0)
	; wave barrier
	s_and_saveexec_b64 s[16:17], s[0:1]
	s_cbranch_execz .LBB0_7
; %bb.6:
	v_mul_f64 v[174:175], v[97:98], s[4:5]
	v_mul_f64 v[178:179], v[97:98], s[8:9]
	;; [unrolled: 1-line block ×11, first 2 shown]
	v_add_f64 v[97:98], v[157:158], v[97:98]
	v_mul_f64 v[83:84], v[83:84], s[18:19]
	v_mul_f64 v[157:158], v[113:114], s[10:11]
	;; [unrolled: 1-line block ×5, first 2 shown]
	v_add_f64 v[103:104], v[159:160], v[103:104]
	v_add_f64 v[30:31], v[26:27], v[30:31]
	;; [unrolled: 1-line block ×4, first 2 shown]
	v_mul_f64 v[184:185], v[99:100], s[8:9]
	v_mul_f64 v[188:189], v[99:100], s[18:19]
	;; [unrolled: 1-line block ×5, first 2 shown]
	v_add_f64 v[113:114], v[163:164], v[113:114]
	v_add_f64 v[83:84], v[83:84], -v[149:150]
	v_add_f64 v[97:98], v[103:104], v[97:98]
	v_add_f64 v[30:31], v[30:31], v[34:35]
	;; [unrolled: 1-line block ×3, first 2 shown]
	v_mul_f64 v[196:197], v[109:110], s[10:11]
	v_mul_f64 v[198:199], v[109:110], s[24:25]
	;; [unrolled: 1-line block ×5, first 2 shown]
	v_add_f64 v[161:162], v[161:162], v[210:211]
	v_add_f64 v[99:100], v[99:100], -v[151:152]
	v_add_f64 v[83:84], v[24:25], v[83:84]
	v_add_f64 v[97:98], v[113:114], v[97:98]
	;; [unrolled: 1-line block ×4, first 2 shown]
	v_mul_f64 v[113:114], v[119:120], s[24:25]
	v_add_f64 v[163:164], v[167:168], v[163:164]
	v_add_f64 v[109:110], v[109:110], -v[155:156]
	v_add_f64 v[145:146], v[145:146], v[182:183]
	v_add_f64 v[83:84], v[99:100], v[83:84]
	;; [unrolled: 1-line block ×5, first 2 shown]
	v_add_f64 v[113:114], v[113:114], -v[153:154]
	v_add_f64 v[125:126], v[125:126], v[178:179]
	v_add_f64 v[72:73], v[72:73], v[174:175]
	;; [unrolled: 1-line block ×8, first 2 shown]
	v_add_f64 v[44:45], v[172:173], -v[68:69]
	v_mul_f64 v[206:207], v[121:122], s[18:19]
	v_mul_f64 v[103:104], v[121:122], s[10:11]
	;; [unrolled: 1-line block ×3, first 2 shown]
	v_add_f64 v[123:124], v[180:181], -v[123:124]
	v_add_f64 v[46:47], v[176:177], -v[87:88]
	v_add_f64 v[109:110], v[113:114], v[109:110]
	v_add_f64 v[113:114], v[135:136], v[204:205]
	;; [unrolled: 1-line block ×9, first 2 shown]
	v_add_f64 v[70:71], v[184:185], -v[70:71]
	v_add_f64 v[44:45], v[24:25], v[44:45]
	v_add_f64 v[32:33], v[141:142], v[121:122]
	;; [unrolled: 1-line block ×3, first 2 shown]
	v_add_f64 v[68:69], v[188:189], -v[91:92]
	v_add_f64 v[24:25], v[24:25], v[46:47]
	v_add_f64 v[34:35], v[192:193], -v[127:128]
	v_add_f64 v[97:98], v[113:114], v[97:98]
	v_add_f64 v[111:112], v[111:112], v[200:201]
	;; [unrolled: 1-line block ×5, first 2 shown]
	v_mul_f64 v[159:160], v[119:120], s[18:19]
	v_add_f64 v[48:49], v[78:79], v[157:158]
	v_add_f64 v[26:27], v[74:75], v[26:27]
	v_add_f64 v[50:51], v[196:197], -v[76:77]
	v_add_f64 v[44:45], v[70:71], v[44:45]
	v_mul_f64 v[208:209], v[119:120], s[10:11]
	v_add_f64 v[46:47], v[198:199], -v[93:94]
	v_add_f64 v[24:25], v[68:69], v[24:25]
	v_mul_f64 v[149:150], v[119:120], s[4:5]
	;; [unrolled: 3-line block ×3, first 2 shown]
	v_mul_f64 v[99:100], v[139:140], s[4:5]
	v_mul_f64 v[139:140], v[139:140], s[18:19]
	v_add_f64 v[32:33], v[32:33], v[97:98]
	v_add_f64 v[97:98], v[115:116], v[103:104]
	;; [unrolled: 1-line block ×5, first 2 shown]
	v_mul_f64 v[119:120], v[133:134], s[24:25]
	v_add_f64 v[54:55], v[85:86], v[206:207]
	v_add_f64 v[26:27], v[48:49], v[26:27]
	v_add_f64 v[48:49], v[159:160], -v[81:82]
	v_add_f64 v[44:45], v[50:51], v[44:45]
	v_mul_f64 v[210:211], v[133:134], s[4:5]
	v_add_f64 v[52:53], v[208:209], -v[101:102]
	v_add_f64 v[24:25], v[46:47], v[24:25]
	v_mul_f64 v[155:156], v[133:134], s[8:9]
	v_mul_f64 v[133:134], v[133:134], s[18:19]
	v_add_f64 v[42:43], v[149:150], -v[131:132]
	v_add_f64 v[34:35], v[38:39], v[34:35]
	v_add_f64 v[36:37], v[143:144], v[139:140]
	;; [unrolled: 1-line block ×8, first 2 shown]
	v_add_f64 v[56:57], v[119:120], -v[89:90]
	v_add_f64 v[44:45], v[48:49], v[44:45]
	v_add_f64 v[46:47], v[210:211], -v[105:106]
	v_add_f64 v[24:25], v[52:53], v[24:25]
	;; [unrolled: 2-line block ×4, first 2 shown]
	v_add_f64 v[30:31], v[38:39], v[97:98]
	v_add_f64 v[38:39], v[58:59], v[66:67]
	;; [unrolled: 1-line block ×8, first 2 shown]
	v_lshlrev_b32_e32 v40, 4, v171
	ds_write_b128 v40, v[36:39]
	ds_write_b128 v40, v[32:35] offset:16
	ds_write_b128 v40, v[28:31] offset:32
	;; [unrolled: 1-line block ×10, first 2 shown]
.LBB0_7:
	s_or_b64 exec, exec, s[16:17]
	s_movk_i32 s8, 0x75
	v_mul_lo_u16_sdwa v24, v170, s8 dst_sel:DWORD dst_unused:UNUSED_PAD src0_sel:BYTE_0 src1_sel:DWORD
	v_sub_u16_sdwa v25, v170, v24 dst_sel:DWORD dst_unused:UNUSED_PAD src0_sel:DWORD src1_sel:BYTE_1
	v_lshrrev_b16_e32 v25, 1, v25
	v_and_b32_e32 v25, 0x7f, v25
	v_add_u16_sdwa v24, v25, v24 dst_sel:DWORD dst_unused:UNUSED_PAD src0_sel:DWORD src1_sel:BYTE_1
	v_lshrrev_b16_e32 v76, 3, v24
	v_mul_lo_u16_e32 v24, 11, v76
	v_sub_u16_e32 v24, v170, v24
	v_and_b32_e32 v93, 0xff, v24
	v_lshlrev_b32_e32 v40, 6, v93
	s_load_dwordx4 s[4:7], s[6:7], 0x0
	s_waitcnt lgkmcnt(0)
	; wave barrier
	s_waitcnt lgkmcnt(0)
	global_load_dwordx4 v[36:39], v40, s[2:3]
	global_load_dwordx4 v[32:35], v40, s[2:3] offset:16
	global_load_dwordx4 v[28:31], v40, s[2:3] offset:32
	;; [unrolled: 1-line block ×3, first 2 shown]
	ds_read_b128 v[40:43], v169
	ds_read_b128 v[44:47], v169 offset:880
	ds_read_b128 v[48:51], v169 offset:1760
	ds_read_b128 v[52:55], v169 offset:2640
	ds_read_b128 v[56:59], v169 offset:3520
	v_mul_u32_u24_e32 v95, 55, v76
	s_mov_b32 s16, 0x134454ff
	s_mov_b32 s17, 0x3fee6f0e
	;; [unrolled: 1-line block ×10, first 2 shown]
	v_lshlrev_b32_e32 v94, 6, v170
	v_add_lshl_u32 v93, v95, v93, 4
	s_waitcnt lgkmcnt(0)
	; wave barrier
	s_waitcnt vmcnt(3) lgkmcnt(0)
	v_mul_f64 v[60:61], v[46:47], v[38:39]
	v_mul_f64 v[62:63], v[44:45], v[38:39]
	s_waitcnt vmcnt(2)
	v_mul_f64 v[64:65], v[50:51], v[34:35]
	v_mul_f64 v[66:67], v[48:49], v[34:35]
	s_waitcnt vmcnt(1)
	;; [unrolled: 3-line block ×3, first 2 shown]
	v_mul_f64 v[74:75], v[58:59], v[26:27]
	v_mul_f64 v[70:71], v[56:57], v[26:27]
	v_fma_f64 v[44:45], v[44:45], v[36:37], -v[60:61]
	v_fma_f64 v[46:47], v[46:47], v[36:37], v[62:63]
	v_fma_f64 v[48:49], v[48:49], v[32:33], -v[64:65]
	v_fma_f64 v[50:51], v[50:51], v[32:33], v[66:67]
	;; [unrolled: 2-line block ×4, first 2 shown]
	v_add_f64 v[60:61], v[40:41], v[44:45]
	v_add_f64 v[78:79], v[42:43], v[46:47]
	v_add_f64 v[68:69], v[44:45], -v[48:49]
	v_add_f64 v[74:75], v[48:49], -v[44:45]
	v_add_f64 v[62:63], v[48:49], v[52:53]
	v_add_f64 v[81:82], v[50:51], v[54:55]
	v_add_f64 v[70:71], v[56:57], -v[52:53]
	v_add_f64 v[72:73], v[44:45], v[56:57]
	v_add_f64 v[89:90], v[46:47], v[58:59]
	v_add_f64 v[64:65], v[46:47], -v[58:59]
	v_add_f64 v[66:67], v[50:51], -v[54:55]
	;; [unrolled: 1-line block ×8, first 2 shown]
	v_add_f64 v[48:49], v[60:61], v[48:49]
	v_fma_f64 v[60:61], v[62:63], -0.5, v[40:41]
	v_add_f64 v[62:63], v[68:69], v[70:71]
	v_add_f64 v[50:51], v[78:79], v[50:51]
	v_fma_f64 v[70:71], v[81:82], -0.5, v[42:43]
	v_fma_f64 v[40:41], v[72:73], -0.5, v[40:41]
	;; [unrolled: 1-line block ×3, first 2 shown]
	v_add_f64 v[87:88], v[58:59], -v[54:55]
	v_add_f64 v[68:69], v[74:75], v[76:77]
	v_add_f64 v[74:75], v[46:47], v[91:92]
	;; [unrolled: 1-line block ×3, first 2 shown]
	v_fma_f64 v[48:49], v[64:65], s[16:17], v[60:61]
	v_add_f64 v[50:51], v[50:51], v[54:55]
	v_fma_f64 v[54:55], v[44:45], s[20:21], v[70:71]
	v_fma_f64 v[52:53], v[64:65], s[20:21], v[60:61]
	;; [unrolled: 1-line block ×7, first 2 shown]
	v_add_f64 v[72:73], v[85:86], v[87:88]
	v_add_f64 v[40:41], v[46:47], v[56:57]
	v_fma_f64 v[46:47], v[66:67], s[8:9], v[48:49]
	v_add_f64 v[42:43], v[50:51], v[58:59]
	v_fma_f64 v[50:51], v[83:84], s[18:19], v[54:55]
	v_fma_f64 v[48:49], v[66:67], s[18:19], v[52:53]
	;; [unrolled: 1-line block ×15, first 2 shown]
	ds_write_b128 v93, v[40:43]
	ds_write_b128 v93, v[44:47] offset:176
	ds_write_b128 v93, v[52:55] offset:352
	;; [unrolled: 1-line block ×4, first 2 shown]
	s_waitcnt lgkmcnt(0)
	; wave barrier
	s_waitcnt lgkmcnt(0)
	global_load_dwordx4 v[52:55], v94, s[2:3] offset:704
	global_load_dwordx4 v[48:51], v94, s[2:3] offset:720
	;; [unrolled: 1-line block ×4, first 2 shown]
	ds_read_b128 v[56:59], v169 offset:880
	ds_read_b128 v[60:63], v169
	ds_read_b128 v[64:67], v169 offset:1760
	ds_read_b128 v[68:71], v169 offset:2640
	;; [unrolled: 1-line block ×3, first 2 shown]
	s_waitcnt vmcnt(3) lgkmcnt(4)
	v_mul_f64 v[76:77], v[58:59], v[54:55]
	v_mul_f64 v[78:79], v[56:57], v[54:55]
	s_waitcnt vmcnt(2) lgkmcnt(2)
	v_mul_f64 v[81:82], v[66:67], v[50:51]
	v_mul_f64 v[83:84], v[64:65], v[50:51]
	s_waitcnt vmcnt(1) lgkmcnt(1)
	v_mul_f64 v[85:86], v[70:71], v[46:47]
	s_waitcnt vmcnt(0) lgkmcnt(0)
	v_mul_f64 v[87:88], v[72:73], v[42:43]
	v_mul_f64 v[89:90], v[68:69], v[46:47]
	;; [unrolled: 1-line block ×3, first 2 shown]
	v_fma_f64 v[56:57], v[56:57], v[52:53], -v[76:77]
	v_fma_f64 v[58:59], v[58:59], v[52:53], v[78:79]
	v_fma_f64 v[64:65], v[64:65], v[48:49], -v[81:82]
	v_fma_f64 v[66:67], v[66:67], v[48:49], v[83:84]
	;; [unrolled: 2-line block ×3, first 2 shown]
	v_fma_f64 v[70:71], v[70:71], v[44:45], v[89:90]
	v_fma_f64 v[72:73], v[72:73], v[40:41], -v[91:92]
	v_add_f64 v[76:77], v[60:61], v[56:57]
	v_add_f64 v[96:97], v[62:63], v[58:59]
	v_add_f64 v[85:86], v[56:57], -v[64:65]
	v_add_f64 v[91:92], v[64:65], -v[56:57]
	v_add_f64 v[78:79], v[64:65], v[68:69]
	v_add_f64 v[106:107], v[58:59], v[74:75]
	v_add_f64 v[98:99], v[66:67], v[70:71]
	v_add_f64 v[87:88], v[72:73], -v[68:69]
	v_add_f64 v[89:90], v[56:57], v[72:73]
	v_add_f64 v[100:101], v[56:57], -v[72:73]
	v_add_f64 v[56:57], v[58:59], -v[66:67]
	;; [unrolled: 1-line block ×9, first 2 shown]
	v_add_f64 v[64:65], v[76:77], v[64:65]
	v_fma_f64 v[76:77], v[78:79], -0.5, v[60:61]
	v_add_f64 v[78:79], v[85:86], v[87:88]
	v_fma_f64 v[60:61], v[89:90], -0.5, v[60:61]
	;; [unrolled: 2-line block ×4, first 2 shown]
	v_add_f64 v[85:86], v[91:92], v[94:95]
	v_add_f64 v[91:92], v[58:59], v[108:109]
	v_add_f64 v[58:59], v[64:65], v[68:69]
	v_fma_f64 v[62:63], v[81:82], s[16:17], v[76:77]
	v_fma_f64 v[64:65], v[81:82], s[20:21], v[76:77]
	v_fma_f64 v[68:69], v[83:84], s[20:21], v[60:61]
	v_fma_f64 v[60:61], v[83:84], s[16:17], v[60:61]
	v_add_f64 v[66:67], v[66:67], v[70:71]
	v_fma_f64 v[70:71], v[100:101], s[20:21], v[87:88]
	v_fma_f64 v[76:77], v[100:101], s[16:17], v[87:88]
	v_fma_f64 v[87:88], v[102:103], s[16:17], v[56:57]
	v_fma_f64 v[94:95], v[102:103], s[20:21], v[56:57]
	v_add_f64 v[56:57], v[58:59], v[72:73]
	;; [unrolled: 5-line block ×3, first 2 shown]
	v_fma_f64 v[66:67], v[102:103], s[18:19], v[70:71]
	v_fma_f64 v[70:71], v[100:101], s[18:19], v[87:88]
	;; [unrolled: 1-line block ×12, first 2 shown]
	ds_write_b128 v169, v[56:59]
	ds_write_b128 v169, v[60:63] offset:880
	ds_write_b128 v169, v[64:67] offset:1760
	;; [unrolled: 1-line block ×4, first 2 shown]
	s_waitcnt lgkmcnt(0)
	; wave barrier
	s_waitcnt lgkmcnt(0)
	s_and_saveexec_b64 s[2:3], s[0:1]
	s_cbranch_execz .LBB0_9
; %bb.8:
	v_mov_b32_e32 v76, s15
	v_add_co_u32_e32 v106, vcc, s14, v169
	v_addc_co_u32_e32 v121, vcc, 0, v76, vcc
	v_add_co_u32_e32 v118, vcc, 0x1130, v106
	v_addc_co_u32_e32 v119, vcc, 0, v121, vcc
	global_load_dwordx4 v[76:79], v[118:119], off offset:400
	global_load_dwordx4 v[81:84], v[118:119], off offset:800
	;; [unrolled: 1-line block ×7, first 2 shown]
	v_add_co_u32_e32 v120, vcc, 0x1000, v106
	v_addc_co_u32_e32 v121, vcc, 0, v121, vcc
	global_load_dwordx4 v[106:109], v[118:119], off offset:3200
	global_load_dwordx4 v[110:113], v[118:119], off offset:3600
	global_load_dwordx4 v[114:117], v[118:119], off offset:4000
	s_nop 0
	global_load_dwordx4 v[118:121], v[120:121], off offset:304
	ds_read_b128 v[122:125], v169
	ds_read_b128 v[126:129], v169 offset:400
	ds_read_b128 v[130:133], v169 offset:800
	;; [unrolled: 1-line block ×10, first 2 shown]
	s_waitcnt vmcnt(10) lgkmcnt(9)
	v_mul_f64 v[166:167], v[128:129], v[78:79]
	v_mul_f64 v[78:79], v[126:127], v[78:79]
	s_waitcnt vmcnt(9) lgkmcnt(8)
	v_mul_f64 v[172:173], v[132:133], v[83:84]
	v_mul_f64 v[83:84], v[130:131], v[83:84]
	;; [unrolled: 3-line block ×10, first 2 shown]
	s_waitcnt vmcnt(0)
	v_mul_f64 v[190:191], v[124:125], v[120:121]
	v_mul_f64 v[120:121], v[122:123], v[120:121]
	v_fma_f64 v[126:127], v[126:127], v[76:77], -v[166:167]
	v_fma_f64 v[128:129], v[128:129], v[76:77], v[78:79]
	v_fma_f64 v[76:77], v[130:131], v[81:82], -v[172:173]
	v_fma_f64 v[78:79], v[132:133], v[81:82], v[83:84]
	v_fma_f64 v[81:82], v[134:135], v[85:86], -v[174:175]
	v_fma_f64 v[83:84], v[136:137], v[85:86], v[87:88]
	v_fma_f64 v[85:86], v[138:139], v[89:90], -v[176:177]
	v_fma_f64 v[87:88], v[140:141], v[89:90], v[91:92]
	v_fma_f64 v[89:90], v[142:143], v[94:95], -v[178:179]
	v_fma_f64 v[91:92], v[144:145], v[94:95], v[96:97]
	v_fma_f64 v[94:95], v[146:147], v[98:99], -v[180:181]
	v_fma_f64 v[96:97], v[148:149], v[98:99], v[100:101]
	v_fma_f64 v[98:99], v[150:151], v[102:103], -v[182:183]
	v_fma_f64 v[100:101], v[152:153], v[102:103], v[104:105]
	v_fma_f64 v[102:103], v[154:155], v[106:107], -v[184:185]
	v_fma_f64 v[104:105], v[156:157], v[106:107], v[108:109]
	v_fma_f64 v[106:107], v[158:159], v[110:111], -v[186:187]
	v_fma_f64 v[108:109], v[160:161], v[110:111], v[112:113]
	v_fma_f64 v[110:111], v[162:163], v[114:115], -v[188:189]
	v_fma_f64 v[112:113], v[164:165], v[114:115], v[116:117]
	v_fma_f64 v[114:115], v[122:123], v[118:119], -v[190:191]
	v_fma_f64 v[116:117], v[124:125], v[118:119], v[120:121]
	ds_write_b128 v169, v[126:129] offset:400
	ds_write_b128 v169, v[76:79] offset:800
	;; [unrolled: 1-line block ×9, first 2 shown]
	ds_write_b128 v169, v[114:117]
	ds_write_b128 v169, v[110:113] offset:4000
.LBB0_9:
	s_or_b64 exec, exec, s[2:3]
	s_waitcnt lgkmcnt(0)
	; wave barrier
	s_waitcnt lgkmcnt(0)
	s_and_saveexec_b64 s[2:3], s[0:1]
	s_cbranch_execz .LBB0_11
; %bb.10:
	ds_read_b128 v[56:59], v169
	ds_read_b128 v[60:63], v169 offset:400
	ds_read_b128 v[64:67], v169 offset:800
	ds_read_b128 v[68:71], v169 offset:1200
	ds_read_b128 v[72:75], v169 offset:1600
	ds_read_b128 v[8:11], v169 offset:2000
	ds_read_b128 v[20:23], v169 offset:2400
	ds_read_b128 v[12:15], v169 offset:2800
	ds_read_b128 v[16:19], v169 offset:3200
	ds_read_b128 v[4:7], v169 offset:3600
	ds_read_b128 v[0:3], v169 offset:4000
.LBB0_11:
	s_or_b64 exec, exec, s[2:3]
	s_waitcnt lgkmcnt(0)
	; wave barrier
	s_waitcnt lgkmcnt(0)
	s_and_saveexec_b64 s[2:3], s[0:1]
	s_cbranch_execz .LBB0_13
; %bb.12:
	v_add_f64 v[114:115], v[60:61], -v[0:1]
	v_add_f64 v[118:119], v[62:63], -v[2:3]
	s_mov_b32 s24, 0xfd768dbf
	s_mov_b32 s25, 0xbfd207e7
	v_add_f64 v[116:117], v[64:65], -v[4:5]
	v_add_f64 v[120:121], v[62:63], v[2:3]
	v_add_f64 v[122:123], v[66:67], -v[6:7]
	v_add_f64 v[124:125], v[60:61], v[0:1]
	v_mul_f64 v[96:97], v[114:115], s[24:25]
	v_mul_f64 v[100:101], v[118:119], s[24:25]
	s_mov_b32 s30, 0xf8bb580b
	s_mov_b32 s22, 0x9bcd5057
	;; [unrolled: 1-line block ×4, first 2 shown]
	v_add_f64 v[91:92], v[68:69], -v[16:17]
	v_mul_f64 v[98:99], v[116:117], s[30:31]
	v_add_f64 v[126:127], v[66:67], v[6:7]
	v_fma_f64 v[102:103], v[120:121], s[22:23], v[96:97]
	v_add_f64 v[128:129], v[70:71], -v[18:19]
	v_add_f64 v[130:131], v[64:65], v[4:5]
	v_mul_f64 v[104:105], v[122:123], s[30:31]
	v_fma_f64 v[106:107], v[124:125], s[22:23], -v[100:101]
	s_mov_b32 s20, 0xbb3a28a1
	s_mov_b32 s26, 0x8764f0ba
	;; [unrolled: 1-line block ×4, first 2 shown]
	v_add_f64 v[89:90], v[72:73], -v[12:13]
	v_mul_f64 v[78:79], v[91:92], s[20:21]
	v_add_f64 v[87:88], v[70:71], v[18:19]
	v_fma_f64 v[108:109], v[126:127], s[26:27], v[98:99]
	v_add_f64 v[102:103], v[58:59], v[102:103]
	v_add_f64 v[132:133], v[74:75], -v[14:15]
	v_add_f64 v[134:135], v[68:69], v[16:17]
	v_mul_f64 v[110:111], v[128:129], s[20:21]
	v_fma_f64 v[112:113], v[130:131], s[26:27], -v[104:105]
	v_add_f64 v[106:107], v[56:57], v[106:107]
	s_mov_b32 s18, 0x7f775887
	s_mov_b32 s11, 0x3fed1bb4
	;; [unrolled: 1-line block ×4, first 2 shown]
	v_add_f64 v[83:84], v[8:9], -v[20:21]
	v_mul_f64 v[76:77], v[89:90], s[10:11]
	v_add_f64 v[85:86], v[74:75], v[14:15]
	v_fma_f64 v[136:137], v[87:88], s[18:19], v[78:79]
	v_fma_f64 v[96:97], v[120:121], s[22:23], -v[96:97]
	v_add_f64 v[102:103], v[108:109], v[102:103]
	v_add_f64 v[138:139], v[10:11], -v[22:23]
	v_add_f64 v[140:141], v[72:73], v[12:13]
	v_mul_f64 v[108:109], v[132:133], s[10:11]
	v_fma_f64 v[142:143], v[134:135], s[18:19], -v[110:111]
	v_add_f64 v[106:107], v[112:113], v[106:107]
	s_mov_b32 s8, 0x43842ef
	s_mov_b32 s16, 0xd9c712b6
	;; [unrolled: 1-line block ×4, first 2 shown]
	v_add_f64 v[81:82], v[10:11], v[22:23]
	v_mul_f64 v[94:95], v[83:84], s[8:9]
	v_fma_f64 v[98:99], v[126:127], s[26:27], -v[98:99]
	v_add_f64 v[96:97], v[58:59], v[96:97]
	v_fma_f64 v[112:113], v[85:86], s[16:17], v[76:77]
	v_add_f64 v[102:103], v[136:137], v[102:103]
	v_add_f64 v[136:137], v[8:9], v[20:21]
	v_mul_f64 v[144:145], v[138:139], s[8:9]
	v_fma_f64 v[146:147], v[140:141], s[16:17], -v[108:109]
	v_add_f64 v[106:107], v[142:143], v[106:107]
	s_mov_b32 s28, 0x640f44db
	s_mov_b32 s29, 0xbfc2375f
	v_fma_f64 v[78:79], v[87:88], s[18:19], -v[78:79]
	v_add_f64 v[96:97], v[98:99], v[96:97]
	v_fma_f64 v[98:99], v[81:82], s[28:29], v[94:95]
	v_add_f64 v[102:103], v[112:113], v[102:103]
	v_fma_f64 v[112:113], v[136:137], s[28:29], -v[144:145]
	v_add_f64 v[106:107], v[146:147], v[106:107]
	v_fma_f64 v[142:143], v[85:86], s[16:17], -v[76:77]
	v_fma_f64 v[100:101], v[124:125], s[22:23], v[100:101]
	s_mov_b32 s36, s8
	v_add_f64 v[96:97], v[78:79], v[96:97]
	v_fma_f64 v[104:105], v[130:131], s[26:27], v[104:105]
	v_add_f64 v[78:79], v[98:99], v[102:103]
	v_mul_f64 v[102:103], v[114:115], s[20:21]
	v_add_f64 v[76:77], v[112:113], v[106:107]
	v_fma_f64 v[106:107], v[134:135], s[18:19], v[110:111]
	v_mul_f64 v[110:111], v[118:119], s[20:21]
	v_fma_f64 v[98:99], v[136:137], s[28:29], v[144:145]
	v_add_f64 v[96:97], v[142:143], v[96:97]
	v_mul_f64 v[112:113], v[116:117], s[36:37]
	v_add_f64 v[100:101], v[56:57], v[100:101]
	v_fma_f64 v[142:143], v[120:121], s[18:19], v[102:103]
	v_mul_f64 v[144:145], v[122:123], s[36:37]
	s_mov_b32 s35, 0xbfe14ced
	v_fma_f64 v[146:147], v[124:125], s[18:19], -v[110:111]
	s_mov_b32 s34, s30
	v_mul_f64 v[148:149], v[91:92], s[34:35]
	v_fma_f64 v[150:151], v[126:127], s[28:29], v[112:113]
	v_add_f64 v[100:101], v[104:105], v[100:101]
	v_add_f64 v[142:143], v[58:59], v[142:143]
	v_fma_f64 v[104:105], v[140:141], s[16:17], v[108:109]
	v_mul_f64 v[108:109], v[128:129], s[34:35]
	v_fma_f64 v[152:153], v[130:131], s[28:29], -v[144:145]
	v_add_f64 v[146:147], v[56:57], v[146:147]
	v_mul_f64 v[154:155], v[89:90], s[24:25]
	v_fma_f64 v[156:157], v[87:88], s[26:27], v[148:149]
	v_add_f64 v[100:101], v[106:107], v[100:101]
	v_add_f64 v[142:143], v[150:151], v[142:143]
	v_fma_f64 v[102:103], v[120:121], s[18:19], -v[102:103]
	v_mul_f64 v[106:107], v[132:133], s[24:25]
	v_fma_f64 v[150:151], v[134:135], s[26:27], -v[108:109]
	v_add_f64 v[146:147], v[152:153], v[146:147]
	v_mul_f64 v[152:153], v[83:84], s[10:11]
	v_fma_f64 v[158:159], v[85:86], s[22:23], v[154:155]
	v_fma_f64 v[112:113], v[126:127], s[28:29], -v[112:113]
	v_add_f64 v[142:143], v[156:157], v[142:143]
	v_add_f64 v[102:103], v[58:59], v[102:103]
	v_mul_f64 v[156:157], v[138:139], s[10:11]
	v_fma_f64 v[160:161], v[140:141], s[22:23], -v[106:107]
	v_add_f64 v[146:147], v[150:151], v[146:147]
	v_fma_f64 v[110:111], v[124:125], s[18:19], v[110:111]
	v_fma_f64 v[94:95], v[81:82], s[28:29], -v[94:95]
	v_add_f64 v[100:101], v[104:105], v[100:101]
	v_fma_f64 v[104:105], v[81:82], s[16:17], v[152:153]
	v_add_f64 v[102:103], v[112:113], v[102:103]
	v_add_f64 v[112:113], v[158:159], v[142:143]
	v_fma_f64 v[142:143], v[136:137], s[16:17], -v[156:157]
	v_add_f64 v[146:147], v[160:161], v[146:147]
	v_fma_f64 v[144:145], v[130:131], s[28:29], v[144:145]
	v_add_f64 v[110:111], v[56:57], v[110:111]
	v_fma_f64 v[148:149], v[87:88], s[26:27], -v[148:149]
	v_add_f64 v[96:97], v[94:95], v[96:97]
	v_add_f64 v[94:95], v[98:99], v[100:101]
	;; [unrolled: 1-line block ×3, first 2 shown]
	v_fma_f64 v[108:109], v[134:135], s[26:27], v[108:109]
	v_add_f64 v[98:99], v[142:143], v[146:147]
	v_mul_f64 v[112:113], v[114:115], s[8:9]
	v_add_f64 v[110:111], v[144:145], v[110:111]
	v_mul_f64 v[142:143], v[118:119], s[8:9]
	s_mov_b32 s39, 0x3fd207e7
	s_mov_b32 s38, s24
	v_fma_f64 v[150:151], v[85:86], s[22:23], -v[154:155]
	v_add_f64 v[102:103], v[148:149], v[102:103]
	v_fma_f64 v[106:107], v[140:141], s[22:23], v[106:107]
	v_mul_f64 v[144:145], v[116:117], s[38:39]
	v_fma_f64 v[146:147], v[120:121], s[28:29], v[112:113]
	v_add_f64 v[108:109], v[108:109], v[110:111]
	v_mul_f64 v[110:111], v[122:123], s[38:39]
	v_fma_f64 v[148:149], v[124:125], s[28:29], -v[142:143]
	v_fma_f64 v[104:105], v[81:82], s[16:17], -v[152:153]
	v_add_f64 v[102:103], v[150:151], v[102:103]
	v_mul_f64 v[150:151], v[91:92], s[10:11]
	v_fma_f64 v[152:153], v[126:127], s[22:23], v[144:145]
	v_add_f64 v[146:147], v[58:59], v[146:147]
	v_add_f64 v[106:107], v[106:107], v[108:109]
	v_mul_f64 v[154:155], v[128:129], s[10:11]
	v_fma_f64 v[108:109], v[120:121], s[28:29], -v[112:113]
	v_fma_f64 v[112:113], v[130:131], s[22:23], -v[110:111]
	v_add_f64 v[148:149], v[56:57], v[148:149]
	v_add_f64 v[104:105], v[104:105], v[102:103]
	v_fma_f64 v[102:103], v[136:137], s[16:17], v[156:157]
	v_mul_f64 v[156:157], v[89:90], s[34:35]
	v_fma_f64 v[158:159], v[87:88], s[16:17], v[150:151]
	v_add_f64 v[146:147], v[152:153], v[146:147]
	v_mul_f64 v[152:153], v[132:133], s[34:35]
	v_fma_f64 v[144:145], v[126:127], s[22:23], -v[144:145]
	v_add_f64 v[108:109], v[58:59], v[108:109]
	v_fma_f64 v[160:161], v[134:135], s[16:17], -v[154:155]
	v_add_f64 v[112:113], v[112:113], v[148:149]
	v_mul_f64 v[148:149], v[83:84], s[20:21]
	v_fma_f64 v[162:163], v[85:86], s[26:27], v[156:157]
	v_add_f64 v[146:147], v[158:159], v[146:147]
	v_mul_f64 v[158:159], v[138:139], s[20:21]
	v_fma_f64 v[150:151], v[87:88], s[16:17], -v[150:151]
	v_add_f64 v[108:109], v[144:145], v[108:109]
	v_fma_f64 v[144:145], v[140:141], s[26:27], -v[152:153]
	v_add_f64 v[112:113], v[160:161], v[112:113]
	v_fma_f64 v[142:143], v[124:125], s[28:29], v[142:143]
	v_add_f64 v[102:103], v[102:103], v[106:107]
	v_fma_f64 v[106:107], v[81:82], s[18:19], v[148:149]
	v_add_f64 v[146:147], v[162:163], v[146:147]
	v_fma_f64 v[156:157], v[85:86], s[26:27], -v[156:157]
	v_add_f64 v[108:109], v[150:151], v[108:109]
	v_fma_f64 v[150:151], v[136:137], s[18:19], -v[158:159]
	v_add_f64 v[112:113], v[144:145], v[112:113]
	v_fma_f64 v[110:111], v[130:131], s[22:23], v[110:111]
	v_add_f64 v[142:143], v[56:57], v[142:143]
	s_mov_b32 s11, 0xbfed1bb4
	v_add_f64 v[62:63], v[58:59], v[62:63]
	v_add_f64 v[60:61], v[56:57], v[60:61]
	;; [unrolled: 1-line block ×5, first 2 shown]
	v_fma_f64 v[150:151], v[134:135], s[16:17], v[154:155]
	v_add_f64 v[110:111], v[110:111], v[142:143]
	v_fma_f64 v[144:145], v[81:82], s[18:19], -v[148:149]
	v_mul_f64 v[148:149], v[114:115], s[10:11]
	v_mul_f64 v[146:147], v[118:119], s[10:11]
	v_fma_f64 v[142:143], v[140:141], s[26:27], v[152:153]
	v_add_f64 v[62:63], v[62:63], v[66:67]
	v_add_f64 v[64:65], v[60:61], v[64:65]
	v_mul_f64 v[154:155], v[116:117], s[20:21]
	v_add_f64 v[110:111], v[150:151], v[110:111]
	v_add_f64 v[112:113], v[144:145], v[156:157]
	v_mul_f64 v[144:145], v[122:123], s[20:21]
	v_fma_f64 v[152:153], v[124:125], s[16:17], -v[146:147]
	v_mul_f64 v[156:157], v[91:92], s[38:39]
	v_add_f64 v[62:63], v[62:63], v[70:71]
	v_add_f64 v[64:65], v[64:65], v[68:69]
	v_fma_f64 v[162:163], v[126:127], s[18:19], v[154:155]
	v_add_f64 v[110:111], v[142:143], v[110:111]
	v_fma_f64 v[142:143], v[120:121], s[16:17], -v[148:149]
	v_fma_f64 v[164:165], v[130:131], s[18:19], -v[144:145]
	v_add_f64 v[152:153], v[56:57], v[152:153]
	v_fma_f64 v[154:155], v[126:127], s[18:19], -v[154:155]
	v_fma_f64 v[160:161], v[120:121], s[16:17], v[148:149]
	v_add_f64 v[62:63], v[62:63], v[74:75]
	v_add_f64 v[64:65], v[64:65], v[72:73]
	v_fma_f64 v[150:151], v[136:137], s[18:19], v[158:159]
	v_add_f64 v[142:143], v[58:59], v[142:143]
	v_fma_f64 v[172:173], v[87:88], s[22:23], v[156:157]
	v_add_f64 v[152:153], v[164:165], v[152:153]
	v_mul_f64 v[164:165], v[83:84], s[30:31]
	v_fma_f64 v[156:157], v[87:88], s[22:23], -v[156:157]
	v_fma_f64 v[146:147], v[124:125], s[16:17], v[146:147]
	v_mul_f64 v[114:115], v[114:115], s[34:35]
	v_mul_f64 v[72:73], v[118:119], s[34:35]
	v_add_f64 v[142:143], v[154:155], v[142:143]
	v_add_f64 v[160:161], v[58:59], v[160:161]
	v_mul_f64 v[158:159], v[128:129], s[38:39]
	v_add_f64 v[10:11], v[62:63], v[10:11]
	v_add_f64 v[8:9], v[64:65], v[8:9]
	;; [unrolled: 1-line block ×3, first 2 shown]
	v_fma_f64 v[150:151], v[81:82], s[26:27], v[164:165]
	v_fma_f64 v[144:145], v[130:131], s[18:19], v[144:145]
	v_add_f64 v[146:147], v[56:57], v[146:147]
	v_add_f64 v[142:143], v[156:157], v[142:143]
	v_fma_f64 v[156:157], v[81:82], s[26:27], -v[164:165]
	v_mul_f64 v[116:117], v[116:117], s[10:11]
	v_fma_f64 v[164:165], v[120:121], s[26:27], v[114:115]
	v_fma_f64 v[114:115], v[120:121], s[26:27], -v[114:115]
	v_mul_f64 v[118:119], v[122:123], s[10:11]
	v_fma_f64 v[62:63], v[124:125], s[26:27], v[72:73]
	v_mul_f64 v[166:167], v[89:90], s[36:37]
	v_add_f64 v[160:161], v[162:163], v[160:161]
	v_fma_f64 v[162:163], v[134:135], s[22:23], -v[158:159]
	v_fma_f64 v[72:73], v[124:125], s[26:27], -v[72:73]
	v_add_f64 v[10:11], v[10:11], v[22:23]
	v_add_f64 v[8:9], v[8:9], v[20:21]
	;; [unrolled: 1-line block ×3, first 2 shown]
	v_mul_f64 v[91:92], v[91:92], s[8:9]
	v_fma_f64 v[66:67], v[126:127], s[16:17], v[116:117]
	v_add_f64 v[146:147], v[58:59], v[164:165]
	v_mul_f64 v[64:65], v[128:129], s[8:9]
	v_fma_f64 v[116:117], v[126:127], s[16:17], -v[116:117]
	v_add_f64 v[58:59], v[58:59], v[114:115]
	v_fma_f64 v[114:115], v[130:131], s[16:17], v[118:119]
	v_add_f64 v[20:21], v[56:57], v[62:63]
	v_mul_f64 v[148:149], v[132:133], s[36:37]
	v_add_f64 v[152:153], v[162:163], v[152:153]
	v_fma_f64 v[162:163], v[85:86], s[28:29], -v[166:167]
	v_fma_f64 v[158:159], v[134:135], s[22:23], v[158:159]
	v_fma_f64 v[22:23], v[130:131], s[16:17], -v[118:119]
	v_add_f64 v[56:57], v[56:57], v[72:73]
	v_add_f64 v[10:11], v[10:11], v[14:15]
	;; [unrolled: 1-line block ×3, first 2 shown]
	v_mul_f64 v[89:90], v[89:90], s[20:21]
	v_fma_f64 v[68:69], v[87:88], s[28:29], v[91:92]
	v_add_f64 v[66:67], v[66:67], v[146:147]
	v_mul_f64 v[74:75], v[132:133], s[20:21]
	v_fma_f64 v[62:63], v[87:88], s[28:29], -v[91:92]
	v_add_f64 v[58:59], v[116:117], v[58:59]
	v_fma_f64 v[72:73], v[134:135], s[28:29], v[64:65]
	v_add_f64 v[12:13], v[114:115], v[20:21]
	v_fma_f64 v[176:177], v[140:141], s[28:29], -v[148:149]
	v_add_f64 v[142:143], v[162:163], v[142:143]
	v_fma_f64 v[148:149], v[140:141], s[28:29], v[148:149]
	v_add_f64 v[144:145], v[158:159], v[144:145]
	v_fma_f64 v[14:15], v[134:135], s[28:29], -v[64:65]
	v_add_f64 v[20:21], v[22:23], v[56:57]
	v_add_f64 v[10:11], v[10:11], v[18:19]
	;; [unrolled: 1-line block ×3, first 2 shown]
	v_mul_f64 v[83:84], v[83:84], s[24:25]
	v_add_f64 v[66:67], v[68:69], v[66:67]
	v_mul_f64 v[68:69], v[138:139], s[24:25]
	v_fma_f64 v[22:23], v[85:86], s[18:19], -v[89:90]
	v_add_f64 v[56:57], v[62:63], v[58:59]
	v_fma_f64 v[58:59], v[140:141], s[18:19], v[74:75]
	v_add_f64 v[12:13], v[72:73], v[12:13]
	v_add_f64 v[160:161], v[172:173], v[160:161]
	v_mul_f64 v[172:173], v[138:139], s[30:31]
	v_fma_f64 v[174:175], v[85:86], s[28:29], v[166:167]
	v_add_f64 v[60:61], v[156:157], v[142:143]
	v_add_f64 v[142:143], v[148:149], v[144:145]
	v_fma_f64 v[144:145], v[85:86], s[18:19], v[89:90]
	v_fma_f64 v[16:17], v[140:141], s[18:19], -v[74:75]
	v_add_f64 v[14:15], v[14:15], v[20:21]
	v_add_f64 v[6:7], v[10:11], v[6:7]
	;; [unrolled: 1-line block ×3, first 2 shown]
	v_fma_f64 v[18:19], v[81:82], s[22:23], -v[83:84]
	v_add_f64 v[20:21], v[22:23], v[56:57]
	v_fma_f64 v[22:23], v[136:137], s[22:23], v[68:69]
	v_add_f64 v[12:13], v[58:59], v[12:13]
	v_fma_f64 v[70:71], v[136:137], s[26:27], v[172:173]
	v_add_f64 v[154:155], v[174:175], v[160:161]
	v_fma_f64 v[160:161], v[136:137], s[26:27], -v[172:173]
	v_add_f64 v[152:153], v[176:177], v[152:153]
	v_fma_f64 v[56:57], v[81:82], s[22:23], v[83:84]
	v_add_f64 v[62:63], v[144:145], v[66:67]
	v_fma_f64 v[64:65], v[136:137], s[22:23], -v[68:69]
	v_add_f64 v[14:15], v[16:17], v[14:15]
	v_add_f64 v[8:9], v[6:7], v[2:3]
	;; [unrolled: 1-line block ×6, first 2 shown]
	v_lshlrev_b32_e32 v0, 4, v171
	v_add_f64 v[12:13], v[150:151], v[154:155]
	v_add_f64 v[10:11], v[160:161], v[152:153]
	;; [unrolled: 1-line block ×4, first 2 shown]
	ds_write_b128 v0, v[6:9]
	ds_write_b128 v0, v[2:5] offset:16
	ds_write_b128 v0, v[58:61] offset:32
	;; [unrolled: 1-line block ×10, first 2 shown]
.LBB0_13:
	s_or_b64 exec, exec, s[2:3]
	s_waitcnt lgkmcnt(0)
	; wave barrier
	s_waitcnt lgkmcnt(0)
	ds_read_b128 v[0:3], v169 offset:1760
	ds_read_b128 v[4:7], v169 offset:2640
	;; [unrolled: 1-line block ×4, first 2 shown]
	s_mov_b32 s2, 0x134454ff
	s_waitcnt lgkmcnt(3)
	v_mul_f64 v[16:17], v[34:35], v[2:3]
	s_waitcnt lgkmcnt(2)
	v_mul_f64 v[18:19], v[30:31], v[6:7]
	;; [unrolled: 2-line block ×3, first 2 shown]
	v_mul_f64 v[22:23], v[38:39], v[8:9]
	s_mov_b32 s3, 0xbfee6f0e
	s_mov_b32 s8, 0x4755a5e
	;; [unrolled: 1-line block ×4, first 2 shown]
	v_fma_f64 v[56:57], v[32:33], v[0:1], v[16:17]
	v_fma_f64 v[58:59], v[28:29], v[4:5], v[18:19]
	ds_read_b128 v[16:19], v169
	s_waitcnt lgkmcnt(1)
	v_mul_f64 v[38:39], v[26:27], v[12:13]
	v_mul_f64 v[0:1], v[34:35], v[0:1]
	;; [unrolled: 1-line block ×4, first 2 shown]
	v_fma_f64 v[8:9], v[36:37], v[8:9], v[20:21]
	v_fma_f64 v[10:11], v[36:37], v[10:11], -v[22:23]
	v_add_f64 v[20:21], v[56:57], v[58:59]
	s_mov_b32 s18, s2
	v_fma_f64 v[14:15], v[24:25], v[14:15], -v[38:39]
	v_fma_f64 v[2:3], v[32:33], v[2:3], -v[0:1]
	;; [unrolled: 1-line block ×3, first 2 shown]
	v_fma_f64 v[12:13], v[24:25], v[12:13], v[26:27]
	s_waitcnt lgkmcnt(0)
	v_add_f64 v[0:1], v[16:17], v[8:9]
	v_add_f64 v[24:25], v[8:9], -v[56:57]
	v_fma_f64 v[4:5], v[20:21], -0.5, v[16:17]
	s_mov_b32 s10, 0x372fe950
	v_add_f64 v[22:23], v[10:11], -v[14:15]
	v_add_f64 v[32:33], v[10:11], v[14:15]
	v_add_f64 v[20:21], v[2:3], -v[6:7]
	v_add_f64 v[26:27], v[12:13], -v[58:59]
	v_add_f64 v[28:29], v[8:9], v[12:13]
	v_add_f64 v[0:1], v[0:1], v[56:57]
	s_mov_b32 s11, 0x3fd3c6ef
	v_add_f64 v[38:39], v[18:19], v[10:11]
	v_fma_f64 v[30:31], v[22:23], s[2:3], v[4:5]
	v_fma_f64 v[34:35], v[22:23], s[18:19], v[4:5]
	s_mov_b32 s17, 0x3fe2cf23
	v_add_f64 v[24:25], v[24:25], v[26:27]
	v_fma_f64 v[16:17], v[28:29], -0.5, v[16:17]
	v_add_f64 v[0:1], v[0:1], v[58:59]
	s_mov_b32 s16, s8
	v_add_f64 v[28:29], v[56:57], -v[8:9]
	v_fma_f64 v[26:27], v[20:21], s[8:9], v[30:31]
	v_add_f64 v[30:31], v[2:3], v[6:7]
	v_add_f64 v[8:9], v[8:9], -v[12:13]
	v_fma_f64 v[36:37], v[20:21], s[18:19], v[16:17]
	v_add_f64 v[0:1], v[0:1], v[12:13]
	v_fma_f64 v[16:17], v[20:21], s[2:3], v[16:17]
	; wave barrier
	v_fma_f64 v[4:5], v[24:25], s[10:11], v[26:27]
	v_add_f64 v[26:27], v[58:59], -v[12:13]
	v_fma_f64 v[30:31], v[30:31], -0.5, v[18:19]
	v_fma_f64 v[12:13], v[20:21], s[16:17], v[34:35]
	v_add_f64 v[34:35], v[56:57], -v[58:59]
	v_fma_f64 v[18:19], v[32:33], -0.5, v[18:19]
	v_add_f64 v[20:21], v[38:39], v[2:3]
	v_fma_f64 v[32:33], v[22:23], s[8:9], v[36:37]
	v_add_f64 v[36:37], v[10:11], -v[2:3]
	v_add_f64 v[26:27], v[28:29], v[26:27]
	v_fma_f64 v[28:29], v[8:9], s[18:19], v[30:31]
	v_add_f64 v[38:39], v[14:15], -v[6:7]
	v_add_f64 v[2:3], v[2:3], -v[10:11]
	v_fma_f64 v[56:57], v[34:35], s[2:3], v[18:19]
	v_add_f64 v[10:11], v[6:7], -v[14:15]
	v_fma_f64 v[18:19], v[34:35], s[18:19], v[18:19]
	v_fma_f64 v[30:31], v[8:9], s[2:3], v[30:31]
	v_add_f64 v[6:7], v[20:21], v[6:7]
	v_fma_f64 v[16:17], v[22:23], s[16:17], v[16:17]
	v_fma_f64 v[20:21], v[34:35], s[16:17], v[28:29]
	v_add_f64 v[22:23], v[36:37], v[38:39]
	v_fma_f64 v[28:29], v[8:9], s[16:17], v[56:57]
	v_add_f64 v[10:11], v[2:3], v[10:11]
	v_fma_f64 v[18:19], v[8:9], s[8:9], v[18:19]
	v_fma_f64 v[30:31], v[34:35], s[8:9], v[30:31]
	v_add_f64 v[2:3], v[6:7], v[14:15]
	v_fma_f64 v[8:9], v[24:25], s[10:11], v[12:13]
	v_fma_f64 v[12:13], v[26:27], s[10:11], v[32:33]
	;; [unrolled: 1-line block ×7, first 2 shown]
	ds_write_b128 v93, v[0:3]
	ds_write_b128 v93, v[4:7] offset:176
	ds_write_b128 v93, v[12:15] offset:352
	;; [unrolled: 1-line block ×4, first 2 shown]
	s_waitcnt lgkmcnt(0)
	; wave barrier
	s_waitcnt lgkmcnt(0)
	ds_read_b128 v[0:3], v169 offset:1760
	ds_read_b128 v[4:7], v169 offset:2640
	;; [unrolled: 1-line block ×4, first 2 shown]
	s_waitcnt lgkmcnt(3)
	v_mul_f64 v[16:17], v[50:51], v[2:3]
	s_waitcnt lgkmcnt(2)
	v_mul_f64 v[18:19], v[46:47], v[6:7]
	;; [unrolled: 2-line block ×3, first 2 shown]
	v_mul_f64 v[20:21], v[54:55], v[10:11]
	v_fma_f64 v[24:25], v[48:49], v[0:1], v[16:17]
	v_fma_f64 v[26:27], v[44:45], v[4:5], v[18:19]
	ds_read_b128 v[16:19], v169
	s_waitcnt lgkmcnt(1)
	v_mul_f64 v[28:29], v[42:43], v[12:13]
	v_fma_f64 v[10:11], v[52:53], v[10:11], -v[22:23]
	v_fma_f64 v[8:9], v[52:53], v[8:9], v[20:21]
	v_mul_f64 v[0:1], v[50:51], v[0:1]
	v_mul_f64 v[4:5], v[46:47], v[4:5]
	v_add_f64 v[20:21], v[24:25], v[26:27]
	v_fma_f64 v[22:23], v[40:41], v[14:15], -v[28:29]
	v_mul_f64 v[14:15], v[42:43], v[14:15]
	v_add_f64 v[30:31], v[8:9], -v[24:25]
	v_fma_f64 v[2:3], v[48:49], v[2:3], -v[0:1]
	s_waitcnt lgkmcnt(0)
	v_add_f64 v[0:1], v[16:17], v[8:9]
	v_fma_f64 v[6:7], v[44:45], v[6:7], -v[4:5]
	v_fma_f64 v[20:21], v[20:21], -0.5, v[16:17]
	v_add_f64 v[42:43], v[18:19], v[10:11]
	v_add_f64 v[28:29], v[10:11], -v[22:23]
	v_fma_f64 v[12:13], v[40:41], v[12:13], v[14:15]
	v_add_f64 v[36:37], v[10:11], v[22:23]
	v_add_f64 v[38:39], v[24:25], -v[8:9]
	v_add_f64 v[0:1], v[0:1], v[24:25]
	v_add_f64 v[14:15], v[2:3], -v[6:7]
	v_fma_f64 v[4:5], v[28:29], s[2:3], v[20:21]
	v_add_f64 v[32:33], v[12:13], -v[26:27]
	v_add_f64 v[34:35], v[8:9], v[12:13]
	v_fma_f64 v[20:21], v[28:29], s[18:19], v[20:21]
	v_add_f64 v[0:1], v[0:1], v[26:27]
	v_add_f64 v[40:41], v[26:27], -v[12:13]
	v_add_f64 v[8:9], v[8:9], -v[12:13]
	v_fma_f64 v[4:5], v[14:15], s[8:9], v[4:5]
	v_add_f64 v[30:31], v[30:31], v[32:33]
	v_fma_f64 v[16:17], v[34:35], -0.5, v[16:17]
	v_add_f64 v[32:33], v[2:3], v[6:7]
	v_add_f64 v[0:1], v[0:1], v[12:13]
	v_fma_f64 v[12:13], v[14:15], s[16:17], v[20:21]
	v_add_f64 v[20:21], v[24:25], -v[26:27]
	v_add_f64 v[26:27], v[38:39], v[40:41]
	v_add_f64 v[38:39], v[22:23], -v[6:7]
	v_fma_f64 v[4:5], v[30:31], s[10:11], v[4:5]
	v_fma_f64 v[34:35], v[14:15], s[18:19], v[16:17]
	v_fma_f64 v[32:33], v[32:33], -0.5, v[18:19]
	v_fma_f64 v[18:19], v[36:37], -0.5, v[18:19]
	v_fma_f64 v[14:15], v[14:15], s[2:3], v[16:17]
	v_add_f64 v[16:17], v[42:43], v[2:3]
	v_add_f64 v[36:37], v[10:11], -v[2:3]
	v_add_f64 v[2:3], v[2:3], -v[10:11]
	;; [unrolled: 1-line block ×3, first 2 shown]
	v_fma_f64 v[24:25], v[28:29], s[8:9], v[34:35]
	v_fma_f64 v[34:35], v[8:9], s[18:19], v[32:33]
	;; [unrolled: 1-line block ×5, first 2 shown]
	v_add_f64 v[6:7], v[16:17], v[6:7]
	v_fma_f64 v[14:15], v[28:29], s[16:17], v[14:15]
	v_add_f64 v[10:11], v[2:3], v[10:11]
	v_fma_f64 v[28:29], v[20:21], s[16:17], v[34:35]
	;; [unrolled: 2-line block ×3, first 2 shown]
	v_fma_f64 v[18:19], v[8:9], s[8:9], v[18:19]
	v_fma_f64 v[20:21], v[20:21], s[8:9], v[32:33]
	v_add_f64 v[2:3], v[6:7], v[22:23]
	v_fma_f64 v[8:9], v[30:31], s[10:11], v[12:13]
	v_fma_f64 v[12:13], v[26:27], s[10:11], v[24:25]
	;; [unrolled: 1-line block ×7, first 2 shown]
	ds_write_b128 v169, v[0:3]
	ds_write_b128 v169, v[4:7] offset:880
	ds_write_b128 v169, v[12:15] offset:1760
	;; [unrolled: 1-line block ×4, first 2 shown]
	s_waitcnt lgkmcnt(0)
	; wave barrier
	s_waitcnt lgkmcnt(0)
	s_and_b64 exec, exec, s[0:1]
	s_cbranch_execz .LBB0_15
; %bb.14:
	global_load_dwordx4 v[0:3], v169, s[14:15]
	global_load_dwordx4 v[4:7], v169, s[14:15] offset:400
	global_load_dwordx4 v[8:11], v169, s[14:15] offset:800
	;; [unrolled: 1-line block ×6, first 2 shown]
	ds_read_b128 v[28:31], v169
	ds_read_b128 v[32:35], v169 offset:400
	ds_read_b128 v[36:39], v169 offset:800
	ds_read_b128 v[40:43], v169 offset:1200
	ds_read_b128 v[44:47], v169 offset:1600
	ds_read_b128 v[48:51], v169 offset:2000
	ds_read_b128 v[52:55], v169 offset:2400
	ds_read_b128 v[56:59], v169 offset:2800
	global_load_dwordx4 v[60:63], v169, s[14:15] offset:2800
	global_load_dwordx4 v[64:67], v169, s[14:15] offset:3200
	ds_read_b128 v[68:71], v169 offset:4000
	global_load_dwordx4 v[72:75], v169, s[14:15] offset:3600
	global_load_dwordx4 v[76:79], v169, s[14:15] offset:4000
	v_mad_u64_u32 v[81:82], s[0:1], s6, v80, 0
	v_mad_u64_u32 v[83:84], s[2:3], s4, v170, 0
	s_mul_i32 s3, s5, 0x190
	s_mul_hi_u32 s6, s4, 0x190
	s_add_i32 s3, s6, s3
	v_mad_u64_u32 v[85:86], s[6:7], s7, v80, v[82:83]
	s_mul_i32 s2, s4, 0x190
	v_mov_b32_e32 v88, s13
	v_mad_u64_u32 v[86:87], s[4:5], s5, v170, v[84:85]
	v_mov_b32_e32 v82, v85
	v_lshlrev_b64 v[80:81], 4, v[81:82]
	v_mov_b32_e32 v84, v86
	v_lshlrev_b64 v[82:83], 4, v[83:84]
	v_add_co_u32_e32 v80, vcc, s12, v80
	v_addc_co_u32_e32 v81, vcc, v88, v81, vcc
	v_add_co_u32_e32 v80, vcc, v80, v82
	v_addc_co_u32_e32 v81, vcc, v81, v83, vcc
	v_mov_b32_e32 v89, s3
	v_add_co_u32_e32 v82, vcc, s2, v80
	v_addc_co_u32_e32 v83, vcc, v81, v89, vcc
	v_mov_b32_e32 v90, s3
	v_add_co_u32_e32 v84, vcc, s2, v82
	v_addc_co_u32_e32 v85, vcc, v83, v90, vcc
	s_mov_b32 s0, 0xdca01dca
	s_mov_b32 s1, 0x3f6dca01
	v_mov_b32_e32 v87, s3
	v_add_co_u32_e32 v86, vcc, s2, v84
	v_addc_co_u32_e32 v87, vcc, v85, v87, vcc
	v_mov_b32_e32 v102, s3
	s_waitcnt vmcnt(10) lgkmcnt(8)
	v_mul_f64 v[88:89], v[30:31], v[2:3]
	v_mul_f64 v[2:3], v[28:29], v[2:3]
	s_waitcnt vmcnt(9) lgkmcnt(7)
	v_mul_f64 v[90:91], v[34:35], v[6:7]
	v_mul_f64 v[6:7], v[32:33], v[6:7]
	;; [unrolled: 3-line block ×6, first 2 shown]
	v_fma_f64 v[28:29], v[28:29], v[0:1], v[88:89]
	v_fma_f64 v[2:3], v[0:1], v[30:31], -v[2:3]
	v_fma_f64 v[30:31], v[32:33], v[4:5], v[90:91]
	v_fma_f64 v[6:7], v[4:5], v[34:35], -v[6:7]
	;; [unrolled: 2-line block ×4, first 2 shown]
	s_waitcnt vmcnt(4) lgkmcnt(2)
	v_mul_f64 v[100:101], v[54:55], v[26:27]
	v_fma_f64 v[36:37], v[44:45], v[16:17], v[96:97]
	v_fma_f64 v[18:19], v[16:17], v[46:47], -v[18:19]
	v_mul_f64 v[0:1], v[28:29], s[0:1]
	v_mul_f64 v[2:3], v[2:3], s[0:1]
	v_fma_f64 v[28:29], v[48:49], v[20:21], v[98:99]
	v_fma_f64 v[20:21], v[20:21], v[50:51], -v[22:23]
	v_mul_f64 v[4:5], v[30:31], s[0:1]
	v_mul_f64 v[6:7], v[6:7], s[0:1]
	;; [unrolled: 1-line block ×9, first 2 shown]
	global_store_dwordx4 v[80:81], v[0:3], off
	global_store_dwordx4 v[82:83], v[4:7], off
	;; [unrolled: 1-line block ×4, first 2 shown]
	v_mul_f64 v[0:1], v[28:29], s[0:1]
	v_mul_f64 v[2:3], v[20:21], s[0:1]
	v_fma_f64 v[6:7], v[52:53], v[24:25], v[100:101]
	v_add_co_u32_e32 v4, vcc, s2, v86
	v_fma_f64 v[8:9], v[24:25], v[54:55], -v[26:27]
	s_waitcnt vmcnt(7) lgkmcnt(1)
	v_mul_f64 v[12:13], v[56:57], v[62:63]
	v_addc_co_u32_e32 v5, vcc, v87, v102, vcc
	v_mul_f64 v[10:11], v[58:59], v[62:63]
	v_mov_b32_e32 v15, s3
	v_add_co_u32_e32 v14, vcc, s2, v4
	v_addc_co_u32_e32 v15, vcc, v5, v15, vcc
	global_store_dwordx4 v[4:5], v[16:19], off
	global_store_dwordx4 v[14:15], v[0:3], off
	v_fma_f64 v[12:13], v[60:61], v[58:59], -v[12:13]
	v_mul_f64 v[0:1], v[6:7], s[0:1]
	ds_read_b128 v[4:7], v169 offset:3200
	v_mul_f64 v[2:3], v[8:9], s[0:1]
	v_fma_f64 v[16:17], v[56:57], v[60:61], v[10:11]
	ds_read_b128 v[8:11], v169 offset:3600
	v_mov_b32_e32 v22, s3
	s_waitcnt vmcnt(8) lgkmcnt(1)
	v_mul_f64 v[18:19], v[6:7], v[66:67]
	v_mul_f64 v[20:21], v[4:5], v[66:67]
	v_add_co_u32_e32 v14, vcc, s2, v14
	v_addc_co_u32_e32 v15, vcc, v15, v22, vcc
	global_store_dwordx4 v[14:15], v[0:3], off
	v_fma_f64 v[4:5], v[4:5], v[64:65], v[18:19]
	v_mul_f64 v[2:3], v[12:13], s[0:1]
	v_mov_b32_e32 v13, s3
	v_add_co_u32_e32 v12, vcc, s2, v14
	v_mul_f64 v[0:1], v[16:17], s[0:1]
	v_fma_f64 v[6:7], v[64:65], v[6:7], -v[20:21]
	v_addc_co_u32_e32 v13, vcc, v15, v13, vcc
	s_waitcnt vmcnt(8) lgkmcnt(0)
	v_mul_f64 v[14:15], v[10:11], v[74:75]
	v_mul_f64 v[16:17], v[8:9], v[74:75]
	s_waitcnt vmcnt(7)
	v_mul_f64 v[18:19], v[70:71], v[78:79]
	v_mul_f64 v[20:21], v[68:69], v[78:79]
	global_store_dwordx4 v[12:13], v[0:3], off
	v_add_co_u32_e32 v12, vcc, s2, v12
	v_mul_f64 v[0:1], v[4:5], s[0:1]
	v_mul_f64 v[2:3], v[6:7], s[0:1]
	v_fma_f64 v[4:5], v[8:9], v[72:73], v[14:15]
	v_fma_f64 v[6:7], v[72:73], v[10:11], -v[16:17]
	v_fma_f64 v[8:9], v[68:69], v[76:77], v[18:19]
	v_fma_f64 v[10:11], v[76:77], v[70:71], -v[20:21]
	v_addc_co_u32_e32 v13, vcc, v13, v22, vcc
	v_mov_b32_e32 v14, s3
	global_store_dwordx4 v[12:13], v[0:3], off
	s_nop 0
	v_mul_f64 v[0:1], v[4:5], s[0:1]
	v_mul_f64 v[2:3], v[6:7], s[0:1]
	;; [unrolled: 1-line block ×4, first 2 shown]
	v_add_co_u32_e32 v8, vcc, s2, v12
	v_addc_co_u32_e32 v9, vcc, v13, v14, vcc
	global_store_dwordx4 v[8:9], v[0:3], off
	s_nop 0
	v_mov_b32_e32 v1, s3
	v_add_co_u32_e32 v0, vcc, s2, v8
	v_addc_co_u32_e32 v1, vcc, v9, v1, vcc
	global_store_dwordx4 v[0:1], v[4:7], off
.LBB0_15:
	s_endpgm
	.section	.rodata,"a",@progbits
	.p2align	6, 0x0
	.amdhsa_kernel bluestein_single_back_len275_dim1_dp_op_CI_CI
		.amdhsa_group_segment_fixed_size 4400
		.amdhsa_private_segment_fixed_size 0
		.amdhsa_kernarg_size 104
		.amdhsa_user_sgpr_count 6
		.amdhsa_user_sgpr_private_segment_buffer 1
		.amdhsa_user_sgpr_dispatch_ptr 0
		.amdhsa_user_sgpr_queue_ptr 0
		.amdhsa_user_sgpr_kernarg_segment_ptr 1
		.amdhsa_user_sgpr_dispatch_id 0
		.amdhsa_user_sgpr_flat_scratch_init 0
		.amdhsa_user_sgpr_private_segment_size 0
		.amdhsa_uses_dynamic_stack 0
		.amdhsa_system_sgpr_private_segment_wavefront_offset 0
		.amdhsa_system_sgpr_workgroup_id_x 1
		.amdhsa_system_sgpr_workgroup_id_y 0
		.amdhsa_system_sgpr_workgroup_id_z 0
		.amdhsa_system_sgpr_workgroup_info 0
		.amdhsa_system_vgpr_workitem_id 0
		.amdhsa_next_free_vgpr 212
		.amdhsa_next_free_sgpr 40
		.amdhsa_reserve_vcc 1
		.amdhsa_reserve_flat_scratch 0
		.amdhsa_float_round_mode_32 0
		.amdhsa_float_round_mode_16_64 0
		.amdhsa_float_denorm_mode_32 3
		.amdhsa_float_denorm_mode_16_64 3
		.amdhsa_dx10_clamp 1
		.amdhsa_ieee_mode 1
		.amdhsa_fp16_overflow 0
		.amdhsa_exception_fp_ieee_invalid_op 0
		.amdhsa_exception_fp_denorm_src 0
		.amdhsa_exception_fp_ieee_div_zero 0
		.amdhsa_exception_fp_ieee_overflow 0
		.amdhsa_exception_fp_ieee_underflow 0
		.amdhsa_exception_fp_ieee_inexact 0
		.amdhsa_exception_int_div_zero 0
	.end_amdhsa_kernel
	.text
.Lfunc_end0:
	.size	bluestein_single_back_len275_dim1_dp_op_CI_CI, .Lfunc_end0-bluestein_single_back_len275_dim1_dp_op_CI_CI
                                        ; -- End function
	.section	.AMDGPU.csdata,"",@progbits
; Kernel info:
; codeLenInByte = 11672
; NumSgprs: 44
; NumVgprs: 212
; ScratchSize: 0
; MemoryBound: 0
; FloatMode: 240
; IeeeMode: 1
; LDSByteSize: 4400 bytes/workgroup (compile time only)
; SGPRBlocks: 5
; VGPRBlocks: 52
; NumSGPRsForWavesPerEU: 44
; NumVGPRsForWavesPerEU: 212
; Occupancy: 1
; WaveLimiterHint : 1
; COMPUTE_PGM_RSRC2:SCRATCH_EN: 0
; COMPUTE_PGM_RSRC2:USER_SGPR: 6
; COMPUTE_PGM_RSRC2:TRAP_HANDLER: 0
; COMPUTE_PGM_RSRC2:TGID_X_EN: 1
; COMPUTE_PGM_RSRC2:TGID_Y_EN: 0
; COMPUTE_PGM_RSRC2:TGID_Z_EN: 0
; COMPUTE_PGM_RSRC2:TIDIG_COMP_CNT: 0
	.type	__hip_cuid_3be38ea188054e5,@object ; @__hip_cuid_3be38ea188054e5
	.section	.bss,"aw",@nobits
	.globl	__hip_cuid_3be38ea188054e5
__hip_cuid_3be38ea188054e5:
	.byte	0                               ; 0x0
	.size	__hip_cuid_3be38ea188054e5, 1

	.ident	"AMD clang version 19.0.0git (https://github.com/RadeonOpenCompute/llvm-project roc-6.4.0 25133 c7fe45cf4b819c5991fe208aaa96edf142730f1d)"
	.section	".note.GNU-stack","",@progbits
	.addrsig
	.addrsig_sym __hip_cuid_3be38ea188054e5
	.amdgpu_metadata
---
amdhsa.kernels:
  - .args:
      - .actual_access:  read_only
        .address_space:  global
        .offset:         0
        .size:           8
        .value_kind:     global_buffer
      - .actual_access:  read_only
        .address_space:  global
        .offset:         8
        .size:           8
        .value_kind:     global_buffer
      - .actual_access:  read_only
        .address_space:  global
        .offset:         16
        .size:           8
        .value_kind:     global_buffer
      - .actual_access:  read_only
        .address_space:  global
        .offset:         24
        .size:           8
        .value_kind:     global_buffer
      - .actual_access:  read_only
        .address_space:  global
        .offset:         32
        .size:           8
        .value_kind:     global_buffer
      - .offset:         40
        .size:           8
        .value_kind:     by_value
      - .address_space:  global
        .offset:         48
        .size:           8
        .value_kind:     global_buffer
      - .address_space:  global
        .offset:         56
        .size:           8
        .value_kind:     global_buffer
      - .address_space:  global
        .offset:         64
        .size:           8
        .value_kind:     global_buffer
      - .address_space:  global
        .offset:         72
        .size:           8
        .value_kind:     global_buffer
      - .offset:         80
        .size:           4
        .value_kind:     by_value
      - .address_space:  global
        .offset:         88
        .size:           8
        .value_kind:     global_buffer
      - .address_space:  global
        .offset:         96
        .size:           8
        .value_kind:     global_buffer
    .group_segment_fixed_size: 4400
    .kernarg_segment_align: 8
    .kernarg_segment_size: 104
    .language:       OpenCL C
    .language_version:
      - 2
      - 0
    .max_flat_workgroup_size: 55
    .name:           bluestein_single_back_len275_dim1_dp_op_CI_CI
    .private_segment_fixed_size: 0
    .sgpr_count:     44
    .sgpr_spill_count: 0
    .symbol:         bluestein_single_back_len275_dim1_dp_op_CI_CI.kd
    .uniform_work_group_size: 1
    .uses_dynamic_stack: false
    .vgpr_count:     212
    .vgpr_spill_count: 0
    .wavefront_size: 64
amdhsa.target:   amdgcn-amd-amdhsa--gfx906
amdhsa.version:
  - 1
  - 2
...

	.end_amdgpu_metadata
